;; amdgpu-corpus repo=ROCm/rocFFT kind=compiled arch=gfx906 opt=O3
	.text
	.amdgcn_target "amdgcn-amd-amdhsa--gfx906"
	.amdhsa_code_object_version 6
	.protected	fft_rtc_fwd_len100_factors_5_5_4_wgs_200_tpt_25_halfLds_sp_ip_CI_sbcc ; -- Begin function fft_rtc_fwd_len100_factors_5_5_4_wgs_200_tpt_25_halfLds_sp_ip_CI_sbcc
	.globl	fft_rtc_fwd_len100_factors_5_5_4_wgs_200_tpt_25_halfLds_sp_ip_CI_sbcc
	.p2align	8
	.type	fft_rtc_fwd_len100_factors_5_5_4_wgs_200_tpt_25_halfLds_sp_ip_CI_sbcc,@function
fft_rtc_fwd_len100_factors_5_5_4_wgs_200_tpt_25_halfLds_sp_ip_CI_sbcc: ; @fft_rtc_fwd_len100_factors_5_5_4_wgs_200_tpt_25_halfLds_sp_ip_CI_sbcc
; %bb.0:
	s_load_dwordx4 s[0:3], s[4:5], 0x18
	s_mov_b32 s7, 0
	s_mov_b64 s[22:23], 0
	s_waitcnt lgkmcnt(0)
	s_load_dwordx2 s[16:17], s[0:1], 0x8
	s_waitcnt lgkmcnt(0)
	s_add_u32 s8, s16, -1
	s_addc_u32 s9, s17, -1
	s_lshr_b64 s[8:9], s[8:9], 3
	s_add_u32 s18, s8, 1
	s_addc_u32 s19, s9, 0
	v_mov_b32_e32 v1, s18
	v_mov_b32_e32 v2, s19
	v_cmp_lt_u64_e32 vcc, s[6:7], v[1:2]
	s_cbranch_vccnz .LBB0_2
; %bb.1:
	v_cvt_f32_u32_e32 v1, s18
	s_sub_i32 s8, 0, s18
	s_mov_b32 s23, s7
	v_rcp_iflag_f32_e32 v1, v1
	v_mul_f32_e32 v1, 0x4f7ffffe, v1
	v_cvt_u32_f32_e32 v1, v1
	v_readfirstlane_b32 s9, v1
	s_mul_i32 s8, s8, s9
	s_mul_hi_u32 s8, s9, s8
	s_add_i32 s9, s9, s8
	s_mul_hi_u32 s8, s6, s9
	s_mul_i32 s10, s8, s18
	s_sub_i32 s10, s6, s10
	s_add_i32 s9, s8, 1
	s_sub_i32 s11, s10, s18
	s_cmp_ge_u32 s10, s18
	s_cselect_b32 s8, s9, s8
	s_cselect_b32 s10, s11, s10
	s_add_i32 s9, s8, 1
	s_cmp_ge_u32 s10, s18
	s_cselect_b32 s22, s9, s8
.LBB0_2:
	s_load_dwordx2 s[14:15], s[4:5], 0x0
	s_load_dwordx4 s[8:11], s[2:3], 0x0
	s_mul_i32 s12, s22, s19
	s_mul_hi_u32 s13, s22, s18
	s_add_i32 s13, s13, s12
	s_mul_i32 s12, s22, s18
	s_sub_u32 s24, s6, s12
	s_subb_u32 s25, 0, s13
	v_mov_b32_e32 v1, s24
	v_alignbit_b32 v1, s25, v1, 29
	s_waitcnt lgkmcnt(0)
	v_mul_lo_u32 v1, s10, v1
	s_load_dwordx2 s[12:13], s[4:5], 0x58
	s_load_dwordx2 s[20:21], s[4:5], 0x10
	s_lshl_b64 s[4:5], s[24:25], 3
	s_mul_hi_u32 s24, s10, s4
	v_add_u32_e32 v1, s24, v1
	s_mul_i32 s24, s11, s4
	v_add_u32_e32 v3, s24, v1
	s_waitcnt lgkmcnt(0)
	v_cmp_lt_u64_e64 s[24:25], s[20:21], 3
	s_mul_i32 s26, s10, s4
	v_mov_b32_e32 v4, s26
	s_and_b64 vcc, exec, s[24:25]
	s_cbranch_vccnz .LBB0_11
; %bb.3:
	s_add_u32 s24, s2, 16
	s_addc_u32 s25, s3, 0
	s_add_u32 s26, s0, 16
	v_mov_b32_e32 v1, s20
	s_addc_u32 s27, s1, 0
	s_mov_b64 s[28:29], 2
	s_mov_b32 s30, 0
	v_mov_b32_e32 v2, s21
	s_branch .LBB0_5
.LBB0_4:                                ;   in Loop: Header=BB0_5 Depth=1
	s_mul_i32 s19, s34, s19
	s_mul_hi_u32 s31, s34, s18
	s_add_i32 s19, s31, s19
	s_mul_i32 s31, s35, s18
	s_add_i32 s19, s19, s31
	s_mul_i32 s31, s0, s35
	s_mul_hi_u32 s33, s0, s34
	s_load_dwordx2 s[36:37], s[24:25], 0x0
	s_add_i32 s31, s33, s31
	s_mul_i32 s33, s1, s34
	s_add_i32 s31, s31, s33
	s_mul_i32 s33, s0, s34
	s_sub_u32 s22, s22, s33
	s_subb_u32 s23, s23, s31
	s_waitcnt lgkmcnt(0)
	s_mul_i32 s23, s36, s23
	s_mul_hi_u32 s31, s36, s22
	s_add_i32 s23, s31, s23
	s_mul_i32 s31, s37, s22
	s_add_i32 s23, s23, s31
	s_mul_i32 s22, s36, s22
	s_add_u32 s28, s28, 1
	v_mov_b32_e32 v5, s23
	v_add_co_u32_e32 v4, vcc, s22, v4
	s_addc_u32 s29, s29, 0
	v_addc_co_u32_e32 v3, vcc, v5, v3, vcc
	s_add_u32 s24, s24, 8
	s_addc_u32 s25, s25, 0
	v_cmp_ge_u64_e32 vcc, s[28:29], v[1:2]
	s_add_u32 s26, s26, 8
	s_mul_i32 s18, s34, s18
	s_addc_u32 s27, s27, 0
	s_mov_b64 s[22:23], s[0:1]
	s_cbranch_vccnz .LBB0_9
.LBB0_5:                                ; =>This Inner Loop Header: Depth=1
	s_load_dwordx2 s[34:35], s[26:27], 0x0
	s_waitcnt lgkmcnt(0)
	s_or_b64 s[0:1], s[22:23], s[34:35]
	s_mov_b32 s31, s1
	s_cmp_lg_u64 s[30:31], 0
	s_cbranch_scc0 .LBB0_7
; %bb.6:                                ;   in Loop: Header=BB0_5 Depth=1
	v_cvt_f32_u32_e32 v5, s34
	v_cvt_f32_u32_e32 v6, s35
	s_sub_u32 s0, 0, s34
	s_subb_u32 s1, 0, s35
	v_mac_f32_e32 v5, 0x4f800000, v6
	v_rcp_f32_e32 v5, v5
	v_mul_f32_e32 v5, 0x5f7ffffc, v5
	v_mul_f32_e32 v6, 0x2f800000, v5
	v_trunc_f32_e32 v6, v6
	v_mac_f32_e32 v5, 0xcf800000, v6
	v_cvt_u32_f32_e32 v6, v6
	v_cvt_u32_f32_e32 v5, v5
	v_readfirstlane_b32 s31, v6
	v_readfirstlane_b32 s33, v5
	s_mul_i32 s36, s0, s31
	s_mul_hi_u32 s38, s0, s33
	s_mul_i32 s37, s1, s33
	s_add_i32 s36, s38, s36
	s_mul_i32 s39, s0, s33
	s_add_i32 s36, s36, s37
	s_mul_hi_u32 s37, s33, s36
	s_mul_i32 s38, s33, s36
	s_mul_hi_u32 s33, s33, s39
	s_add_u32 s33, s33, s38
	s_addc_u32 s37, 0, s37
	s_mul_hi_u32 s40, s31, s39
	s_mul_i32 s39, s31, s39
	s_add_u32 s33, s33, s39
	s_mul_hi_u32 s38, s31, s36
	s_addc_u32 s33, s37, s40
	s_addc_u32 s37, s38, 0
	s_mul_i32 s36, s31, s36
	s_add_u32 s33, s33, s36
	s_addc_u32 s36, 0, s37
	v_add_co_u32_e32 v5, vcc, s33, v5
	s_cmp_lg_u64 vcc, 0
	s_addc_u32 s31, s31, s36
	v_readfirstlane_b32 s36, v5
	s_mul_i32 s33, s0, s31
	s_mul_hi_u32 s37, s0, s36
	s_add_i32 s33, s37, s33
	s_mul_i32 s1, s1, s36
	s_add_i32 s33, s33, s1
	s_mul_i32 s0, s0, s36
	s_mul_hi_u32 s37, s31, s0
	s_mul_i32 s38, s31, s0
	s_mul_i32 s40, s36, s33
	s_mul_hi_u32 s0, s36, s0
	s_mul_hi_u32 s39, s36, s33
	s_add_u32 s0, s0, s40
	s_addc_u32 s36, 0, s39
	s_add_u32 s0, s0, s38
	s_mul_hi_u32 s1, s31, s33
	s_addc_u32 s0, s36, s37
	s_addc_u32 s1, s1, 0
	s_mul_i32 s33, s31, s33
	s_add_u32 s0, s0, s33
	s_addc_u32 s1, 0, s1
	v_add_co_u32_e32 v5, vcc, s0, v5
	s_cmp_lg_u64 vcc, 0
	s_addc_u32 s0, s31, s1
	v_readfirstlane_b32 s33, v5
	s_mul_i32 s31, s22, s0
	s_mul_hi_u32 s36, s22, s33
	s_mul_hi_u32 s1, s22, s0
	s_add_u32 s31, s36, s31
	s_addc_u32 s1, 0, s1
	s_mul_hi_u32 s37, s23, s33
	s_mul_i32 s33, s23, s33
	s_add_u32 s31, s31, s33
	s_mul_hi_u32 s36, s23, s0
	s_addc_u32 s1, s1, s37
	s_addc_u32 s31, s36, 0
	s_mul_i32 s0, s23, s0
	s_add_u32 s33, s1, s0
	s_addc_u32 s31, 0, s31
	s_mul_i32 s0, s34, s31
	s_mul_hi_u32 s1, s34, s33
	s_add_i32 s0, s1, s0
	s_mul_i32 s1, s35, s33
	s_add_i32 s36, s0, s1
	s_mul_i32 s1, s34, s33
	v_mov_b32_e32 v5, s1
	s_sub_i32 s0, s23, s36
	v_sub_co_u32_e32 v5, vcc, s22, v5
	s_cmp_lg_u64 vcc, 0
	s_subb_u32 s37, s0, s35
	v_subrev_co_u32_e64 v6, s[0:1], s34, v5
	s_cmp_lg_u64 s[0:1], 0
	s_subb_u32 s0, s37, 0
	s_cmp_ge_u32 s0, s35
	v_readfirstlane_b32 s37, v6
	s_cselect_b32 s1, -1, 0
	s_cmp_ge_u32 s37, s34
	s_cselect_b32 s37, -1, 0
	s_cmp_eq_u32 s0, s35
	s_cselect_b32 s0, s37, s1
	s_add_u32 s1, s33, 1
	s_addc_u32 s37, s31, 0
	s_add_u32 s38, s33, 2
	s_addc_u32 s39, s31, 0
	s_cmp_lg_u32 s0, 0
	s_cselect_b32 s0, s38, s1
	s_cselect_b32 s1, s39, s37
	s_cmp_lg_u64 vcc, 0
	s_subb_u32 s36, s23, s36
	s_cmp_ge_u32 s36, s35
	v_readfirstlane_b32 s38, v5
	s_cselect_b32 s37, -1, 0
	s_cmp_ge_u32 s38, s34
	s_cselect_b32 s38, -1, 0
	s_cmp_eq_u32 s36, s35
	s_cselect_b32 s36, s38, s37
	s_cmp_lg_u32 s36, 0
	s_cselect_b32 s1, s1, s31
	s_cselect_b32 s0, s0, s33
	s_cbranch_execnz .LBB0_4
	s_branch .LBB0_8
.LBB0_7:                                ;   in Loop: Header=BB0_5 Depth=1
                                        ; implicit-def: $sgpr0_sgpr1
.LBB0_8:                                ;   in Loop: Header=BB0_5 Depth=1
	v_cvt_f32_u32_e32 v5, s34
	s_sub_i32 s0, 0, s34
	v_rcp_iflag_f32_e32 v5, v5
	v_mul_f32_e32 v5, 0x4f7ffffe, v5
	v_cvt_u32_f32_e32 v5, v5
	v_readfirstlane_b32 s1, v5
	s_mul_i32 s0, s0, s1
	s_mul_hi_u32 s0, s1, s0
	s_add_i32 s1, s1, s0
	s_mul_hi_u32 s0, s22, s1
	s_mul_i32 s31, s0, s34
	s_sub_i32 s31, s22, s31
	s_add_i32 s1, s0, 1
	s_sub_i32 s33, s31, s34
	s_cmp_ge_u32 s31, s34
	s_cselect_b32 s0, s1, s0
	s_cselect_b32 s31, s33, s31
	s_add_i32 s1, s0, 1
	s_cmp_ge_u32 s31, s34
	s_cselect_b32 s0, s1, s0
	s_mov_b32 s1, s30
	s_branch .LBB0_4
.LBB0_9:
	v_mov_b32_e32 v1, s18
	v_mov_b32_e32 v2, s19
	v_cmp_lt_u64_e32 vcc, s[6:7], v[1:2]
	s_mov_b64 s[22:23], 0
	s_cbranch_vccnz .LBB0_11
; %bb.10:
	v_cvt_f32_u32_e32 v1, s18
	s_sub_i32 s0, 0, s18
	v_rcp_iflag_f32_e32 v1, v1
	v_mul_f32_e32 v1, 0x4f7ffffe, v1
	v_cvt_u32_f32_e32 v1, v1
	v_readfirstlane_b32 s1, v1
	s_mul_i32 s0, s0, s1
	s_mul_hi_u32 s0, s1, s0
	s_add_i32 s1, s1, s0
	s_mul_hi_u32 s0, s6, s1
	s_mul_i32 s7, s0, s18
	s_sub_i32 s6, s6, s7
	s_add_i32 s1, s0, 1
	s_sub_i32 s7, s6, s18
	s_cmp_ge_u32 s6, s18
	s_cselect_b32 s0, s1, s0
	s_cselect_b32 s6, s7, s6
	s_add_i32 s1, s0, 1
	s_cmp_ge_u32 s6, s18
	s_cselect_b32 s22, s1, s0
.LBB0_11:
	s_lshl_b64 s[0:1], s[20:21], 3
	s_add_u32 s0, s2, s0
	s_addc_u32 s1, s3, s1
	s_load_dwordx2 s[0:1], s[0:1], 0x0
	v_and_b32_e32 v23, 7, v0
	v_lshrrev_b32_e32 v20, 3, v0
	v_lshlrev_b32_e32 v24, 3, v20
	v_add_u32_e32 v22, 25, v20
	s_waitcnt lgkmcnt(0)
	s_mul_i32 s1, s1, s22
	s_mul_hi_u32 s2, s0, s22
	s_mul_i32 s0, s0, s22
	s_add_i32 s1, s2, s1
	v_mov_b32_e32 v2, s1
	v_add_co_u32_e32 v1, vcc, s0, v4
	v_addc_co_u32_e32 v2, vcc, v2, v3, vcc
	s_add_u32 s0, s4, 8
	v_mov_b32_e32 v3, s16
	s_addc_u32 s1, s5, 0
	v_mov_b32_e32 v4, s17
	v_cmp_le_u64_e32 vcc, s[0:1], v[3:4]
	v_or_b32_e32 v3, s4, v23
	v_mov_b32_e32 v4, s5
	v_cmp_gt_u64_e64 s[0:1], s[16:17], v[3:4]
	v_lshlrev_b64 v[8:9], 3, v[1:2]
	s_or_b64 s[0:1], vcc, s[0:1]
	v_add_u32_e32 v21, 50, v20
	s_and_saveexec_b64 s[2:3], s[0:1]
	s_cbranch_execz .LBB0_13
; %bb.12:
	v_mad_u64_u32 v[1:2], s[4:5], s10, v23, 0
	v_mad_u64_u32 v[3:4], s[4:5], s8, v20, 0
	v_add_u32_e32 v12, 0x4b, v20
	v_mad_u64_u32 v[5:6], s[4:5], s11, v23, v[2:3]
	v_mov_b32_e32 v2, v4
	v_mad_u64_u32 v[6:7], s[4:5], s9, v20, v[2:3]
	v_mov_b32_e32 v2, v5
	v_mov_b32_e32 v5, s13
	v_add_co_u32_e32 v7, vcc, s12, v8
	v_mov_b32_e32 v4, v6
	v_addc_co_u32_e32 v10, vcc, v5, v9, vcc
	v_mad_u64_u32 v[5:6], s[4:5], s8, v22, 0
	v_lshlrev_b64 v[1:2], 3, v[1:2]
	v_add_co_u32_e32 v14, vcc, v7, v1
	v_addc_co_u32_e32 v15, vcc, v10, v2, vcc
	v_lshlrev_b64 v[1:2], 3, v[3:4]
	v_mov_b32_e32 v3, v6
	v_mad_u64_u32 v[3:4], s[4:5], s9, v22, v[3:4]
	v_mad_u64_u32 v[10:11], s[4:5], s8, v21, 0
	v_mov_b32_e32 v6, v3
	v_lshlrev_b64 v[3:4], 3, v[5:6]
	v_mov_b32_e32 v5, v11
	v_mad_u64_u32 v[5:6], s[4:5], s9, v21, v[5:6]
	v_mad_u64_u32 v[6:7], s[4:5], s8, v12, 0
	v_mov_b32_e32 v11, v5
	v_add_co_u32_e32 v1, vcc, v14, v1
	v_mov_b32_e32 v5, v7
	v_mad_u64_u32 v[12:13], s[4:5], s9, v12, v[5:6]
	v_addc_co_u32_e32 v2, vcc, v15, v2, vcc
	v_add_co_u32_e32 v3, vcc, v14, v3
	v_lshlrev_b64 v[10:11], 3, v[10:11]
	v_addc_co_u32_e32 v4, vcc, v15, v4, vcc
	v_mov_b32_e32 v7, v12
	v_add_co_u32_e32 v10, vcc, v14, v10
	v_lshlrev_b64 v[5:6], 3, v[6:7]
	v_addc_co_u32_e32 v11, vcc, v15, v11, vcc
	v_add_co_u32_e32 v5, vcc, v14, v5
	v_addc_co_u32_e32 v6, vcc, v15, v6, vcc
	global_load_dwordx2 v[12:13], v[1:2], off
	global_load_dwordx2 v[14:15], v[3:4], off
	;; [unrolled: 1-line block ×4, first 2 shown]
	v_mul_u32_u24_e32 v1, 0x320, v23
	v_add3_u32 v1, 0, v1, v24
	s_waitcnt vmcnt(2)
	ds_write2_b64 v1, v[12:13], v[14:15] offset1:25
	s_waitcnt vmcnt(0)
	ds_write2_b64 v1, v[16:17], v[18:19] offset0:50 offset1:75
.LBB0_13:
	s_or_b64 exec, exec, s[2:3]
	s_movk_i32 s2, 0x47af
	v_mul_u32_u24_sdwa v1, v0, s2 dst_sel:DWORD dst_unused:UNUSED_PAD src0_sel:WORD_0 src1_sel:DWORD
	v_sub_u16_sdwa v2, v0, v1 dst_sel:DWORD dst_unused:UNUSED_PAD src0_sel:DWORD src1_sel:WORD_1
	v_lshrrev_b16_e32 v2, 1, v2
	v_add_u16_sdwa v1, v2, v1 dst_sel:DWORD dst_unused:UNUSED_PAD src0_sel:DWORD src1_sel:WORD_1
	v_lshrrev_b16_e32 v1, 4, v1
	v_and_b32_e32 v2, 7, v1
	v_mul_lo_u16_e32 v1, 25, v1
	v_mul_lo_u16_e32 v18, 0x64, v2
	v_sub_u16_e32 v26, v0, v1
	v_lshlrev_b32_e32 v0, 3, v18
	v_lshlrev_b32_e32 v1, 3, v26
	v_add_u32_e32 v17, 0, v0
	v_add_u32_e32 v16, 0, v1
	;; [unrolled: 1-line block ×4, first 2 shown]
	s_waitcnt lgkmcnt(0)
	s_barrier
	ds_read2_b64 v[0:3], v25 offset0:20 offset1:40
	ds_read2_b64 v[4:7], v25 offset0:60 offset1:80
	ds_read_b64 v[10:11], v10
	v_cmp_gt_u16_e32 vcc, 20, v26
	v_mul_u32_u24_e32 v30, 12, v26
	s_waitcnt lgkmcnt(2)
	v_sub_f32_e32 v15, v2, v0
	s_waitcnt lgkmcnt(1)
	v_add_f32_e32 v12, v2, v4
	s_waitcnt lgkmcnt(0)
	v_fma_f32 v13, -0.5, v12, v10
	v_sub_f32_e32 v12, v0, v2
	v_sub_f32_e32 v14, v6, v4
	;; [unrolled: 1-line block ×3, first 2 shown]
	v_add_f32_e32 v12, v12, v14
	v_mov_b32_e32 v14, v13
	v_fmac_f32_e32 v14, 0x3f737871, v19
	v_sub_f32_e32 v27, v3, v5
	v_fmac_f32_e32 v13, 0xbf737871, v19
	v_fmac_f32_e32 v14, 0x3f167918, v27
	;; [unrolled: 1-line block ×5, first 2 shown]
	v_add_f32_e32 v12, v0, v6
	v_fma_f32 v12, -0.5, v12, v10
	v_sub_f32_e32 v28, v4, v6
	v_add_f32_e32 v28, v15, v28
	v_mov_b32_e32 v15, v12
	v_add_f32_e32 v10, v10, v0
	v_fmac_f32_e32 v15, 0xbf737871, v27
	v_fmac_f32_e32 v12, 0x3f737871, v27
	v_add_f32_e32 v10, v10, v2
	v_fmac_f32_e32 v15, 0x3f167918, v19
	v_fmac_f32_e32 v12, 0xbf167918, v19
	v_add_f32_e32 v10, v10, v4
	v_fmac_f32_e32 v15, 0x3e9e377a, v28
	v_fmac_f32_e32 v12, 0x3e9e377a, v28
	v_add_f32_e32 v29, v10, v6
	v_lshlrev_b32_e32 v10, 2, v18
	s_and_saveexec_b64 s[2:3], vcc
	s_cbranch_execz .LBB0_15
; %bb.14:
	v_add3_u32 v18, v16, v30, v10
	ds_write2_b32 v18, v29, v14 offset1:1
	ds_write2_b32 v18, v15, v12 offset0:2 offset1:3
	ds_write_b32 v18, v13 offset:16
.LBB0_15:
	s_or_b64 exec, exec, s[2:3]
	v_lshlrev_b32_e32 v28, 2, v26
	s_waitcnt lgkmcnt(0)
	s_barrier
	s_and_saveexec_b64 s[2:3], vcc
	s_cbranch_execz .LBB0_17
; %bb.16:
	v_sub_u32_e32 v12, v17, v10
	v_add_u32_e32 v12, v12, v28
	ds_read_b32 v29, v12
	v_sub_u32_e32 v12, v16, v28
	v_add_u32_e32 v12, v12, v10
	ds_read2_b32 v[14:15], v12 offset0:20 offset1:40
	ds_read2_b32 v[12:13], v12 offset0:60 offset1:80
.LBB0_17:
	s_or_b64 exec, exec, s[2:3]
	v_add_f32_e32 v17, v11, v1
	v_add_f32_e32 v17, v17, v3
	;; [unrolled: 1-line block ×5, first 2 shown]
	v_fma_f32 v17, -0.5, v17, v11
	v_sub_f32_e32 v0, v0, v6
	v_mov_b32_e32 v18, v17
	v_fmac_f32_e32 v18, 0xbf737871, v0
	v_sub_f32_e32 v2, v2, v4
	v_sub_f32_e32 v4, v1, v3
	;; [unrolled: 1-line block ×3, first 2 shown]
	v_fmac_f32_e32 v17, 0x3f737871, v0
	v_fmac_f32_e32 v18, 0xbf167918, v2
	v_add_f32_e32 v4, v4, v6
	v_fmac_f32_e32 v17, 0x3f167918, v2
	v_fmac_f32_e32 v18, 0x3e9e377a, v4
	;; [unrolled: 1-line block ×3, first 2 shown]
	v_add_f32_e32 v4, v1, v7
	v_fmac_f32_e32 v11, -0.5, v4
	v_mov_b32_e32 v19, v11
	v_fmac_f32_e32 v19, 0x3f737871, v2
	v_sub_f32_e32 v1, v3, v1
	v_sub_f32_e32 v3, v5, v7
	v_fmac_f32_e32 v11, 0xbf737871, v2
	v_fmac_f32_e32 v19, 0xbf167918, v0
	v_add_f32_e32 v1, v1, v3
	v_fmac_f32_e32 v11, 0x3f167918, v0
	v_fmac_f32_e32 v19, 0x3e9e377a, v1
	;; [unrolled: 1-line block ×3, first 2 shown]
	s_waitcnt lgkmcnt(0)
	s_barrier
	s_and_saveexec_b64 s[2:3], vcc
	s_cbranch_execz .LBB0_19
; %bb.18:
	v_add3_u32 v0, v16, v30, v10
	ds_write2_b32 v0, v27, v18 offset1:1
	ds_write2_b32 v0, v19, v11 offset0:2 offset1:3
	ds_write_b32 v0, v17 offset:16
.LBB0_19:
	s_or_b64 exec, exec, s[2:3]
	s_waitcnt lgkmcnt(0)
	s_barrier
	s_and_saveexec_b64 s[2:3], vcc
	s_cbranch_execz .LBB0_21
; %bb.20:
	v_add3_u32 v0, 0, v10, v28
	ds_read_b32 v27, v0
	v_add3_u32 v0, 0, v28, v10
	ds_read2_b32 v[16:17], v0 offset0:60 offset1:80
	ds_read2_b32 v[18:19], v0 offset0:20 offset1:40
	s_waitcnt lgkmcnt(1)
	v_mov_b32_e32 v11, v16
.LBB0_21:
	s_or_b64 exec, exec, s[2:3]
	s_movk_i32 s2, 0xcd
	v_mul_lo_u16_sdwa v0, v26, s2 dst_sel:DWORD dst_unused:UNUSED_PAD src0_sel:BYTE_0 src1_sel:DWORD
	v_lshrrev_b16_e32 v0, 10, v0
	v_mul_lo_u16_e32 v1, 5, v0
	v_sub_u16_e32 v1, v26, v1
	v_and_b32_e32 v1, 0xff, v1
	v_lshlrev_b32_e32 v2, 5, v1
	global_load_dwordx4 v[31:34], v2, s[14:15]
	global_load_dwordx4 v[35:38], v2, s[14:15] offset:16
	v_mul_lo_u16_e32 v2, 25, v0
	s_waitcnt vmcnt(0) lgkmcnt(0)
	s_barrier
	v_mul_f32_e32 v0, v18, v32
	v_mul_f32_e32 v5, v14, v32
	;; [unrolled: 1-line block ×7, first 2 shown]
	v_fma_f32 v30, v14, v31, -v0
	v_mul_f32_e32 v14, v13, v38
	v_fma_f32 v15, v15, v33, -v3
	v_fmac_f32_e32 v5, v18, v31
	v_fmac_f32_e32 v6, v19, v33
	v_fma_f32 v12, v12, v35, -v4
	v_fmac_f32_e32 v16, v11, v35
	v_fma_f32 v11, v13, v37, -v7
	v_fmac_f32_e32 v14, v17, v37
	v_lshl_add_u32 v7, v1, 2, 0
	s_and_saveexec_b64 s[2:3], vcc
	s_cbranch_execz .LBB0_23
; %bb.22:
	v_sub_f32_e32 v0, v15, v30
	v_sub_f32_e32 v1, v12, v11
	v_add_f32_e32 v0, v0, v1
	v_add_f32_e32 v1, v30, v11
	v_fma_f32 v1, -0.5, v1, v29
	v_sub_f32_e32 v3, v6, v16
	v_mov_b32_e32 v4, v1
	v_fmac_f32_e32 v4, 0x3f737871, v3
	v_sub_f32_e32 v13, v5, v14
	v_fmac_f32_e32 v1, 0xbf737871, v3
	v_fmac_f32_e32 v4, 0xbf167918, v13
	;; [unrolled: 1-line block ×5, first 2 shown]
	v_sub_f32_e32 v0, v30, v15
	v_sub_f32_e32 v17, v11, v12
	v_add_f32_e32 v0, v0, v17
	v_add_f32_e32 v17, v15, v12
	v_fma_f32 v17, -0.5, v17, v29
	v_mov_b32_e32 v18, v17
	v_fmac_f32_e32 v18, 0xbf737871, v13
	v_fmac_f32_e32 v17, 0x3f737871, v13
	;; [unrolled: 1-line block ×6, first 2 shown]
	v_add_f32_e32 v0, v29, v30
	v_add_f32_e32 v0, v0, v15
	v_mov_b32_e32 v3, 2
	v_add_f32_e32 v0, v0, v12
	v_lshlrev_b32_sdwa v3, v3, v2 dst_sel:DWORD dst_unused:UNUSED_PAD src0_sel:DWORD src1_sel:BYTE_0
	v_add_f32_e32 v0, v0, v11
	v_add3_u32 v3, v7, v3, v10
	ds_write2_b32 v3, v0, v17 offset1:5
	ds_write2_b32 v3, v1, v4 offset0:10 offset1:15
	ds_write_b32 v3, v18 offset:80
.LBB0_23:
	s_or_b64 exec, exec, s[2:3]
	v_add3_u32 v17, 0, v28, v10
	s_waitcnt lgkmcnt(0)
	s_barrier
	v_add3_u32 v13, 0, v10, v28
	ds_read2_b32 v[0:1], v17 offset0:25 offset1:50
	ds_read_b32 v3, v13
	ds_read_b32 v4, v17 offset:300
	s_waitcnt lgkmcnt(0)
	s_barrier
	s_and_saveexec_b64 s[2:3], vcc
	s_cbranch_execz .LBB0_25
; %bb.24:
	v_add_f32_e32 v19, v6, v16
	v_fma_f32 v19, -0.5, v19, v27
	v_sub_f32_e32 v11, v30, v11
	v_mov_b32_e32 v28, v19
	v_fmac_f32_e32 v28, 0xbf737871, v11
	v_sub_f32_e32 v12, v15, v12
	v_sub_f32_e32 v15, v5, v6
	;; [unrolled: 1-line block ×3, first 2 shown]
	v_fmac_f32_e32 v19, 0x3f737871, v11
	v_fmac_f32_e32 v28, 0xbf167918, v12
	v_add_f32_e32 v15, v15, v29
	v_fmac_f32_e32 v19, 0x3f167918, v12
	v_fmac_f32_e32 v28, 0x3e9e377a, v15
	;; [unrolled: 1-line block ×3, first 2 shown]
	v_add_f32_e32 v15, v5, v14
	v_add_f32_e32 v18, v27, v5
	v_fmac_f32_e32 v27, -0.5, v15
	v_mov_b32_e32 v15, v27
	v_add_f32_e32 v18, v18, v6
	v_fmac_f32_e32 v15, 0x3f737871, v12
	v_sub_f32_e32 v5, v6, v5
	v_sub_f32_e32 v6, v16, v14
	v_fmac_f32_e32 v27, 0xbf737871, v12
	v_fmac_f32_e32 v15, 0xbf167918, v11
	v_add_f32_e32 v5, v5, v6
	v_fmac_f32_e32 v27, 0x3f167918, v11
	v_fmac_f32_e32 v15, 0x3e9e377a, v5
	;; [unrolled: 1-line block ×3, first 2 shown]
	v_mov_b32_e32 v5, 2
	v_add_f32_e32 v18, v18, v16
	v_lshlrev_b32_sdwa v2, v5, v2 dst_sel:DWORD dst_unused:UNUSED_PAD src0_sel:DWORD src1_sel:BYTE_0
	v_add_f32_e32 v18, v18, v14
	v_add3_u32 v2, v7, v2, v10
	ds_write2_b32 v2, v18, v28 offset1:5
	ds_write2_b32 v2, v15, v27 offset0:10 offset1:15
	ds_write_b32 v2, v19 offset:80
.LBB0_25:
	s_or_b64 exec, exec, s[2:3]
	v_mul_u32_u24_e32 v2, 3, v26
	v_lshlrev_b32_e32 v2, 3, v2
	s_waitcnt lgkmcnt(0)
	s_barrier
	global_load_dwordx4 v[26:29], v2, s[14:15] offset:160
	global_load_dwordx2 v[5:6], v2, s[14:15] offset:176
	ds_read2_b32 v[10:11], v17 offset0:25 offset1:50
	ds_read_b32 v2, v13
	ds_read_b32 v7, v17 offset:300
	s_waitcnt vmcnt(0) lgkmcnt(0)
	s_barrier
	v_mul_f32_e32 v12, v10, v27
	v_mul_f32_e32 v13, v0, v27
	;; [unrolled: 1-line block ×6, first 2 shown]
	v_fma_f32 v0, v0, v26, -v12
	v_fmac_f32_e32 v13, v10, v26
	v_fma_f32 v1, v1, v28, -v14
	v_fmac_f32_e32 v15, v11, v28
	;; [unrolled: 2-line block ×3, first 2 shown]
	v_sub_f32_e32 v5, v3, v1
	v_sub_f32_e32 v7, v2, v15
	;; [unrolled: 1-line block ×4, first 2 shown]
	v_fma_f32 v6, v3, 2.0, -v5
	v_fma_f32 v10, v2, 2.0, -v7
	;; [unrolled: 1-line block ×4, first 2 shown]
	v_sub_f32_e32 v0, v5, v4
	v_add_f32_e32 v1, v7, v1
	v_sub_f32_e32 v2, v6, v2
	v_sub_f32_e32 v3, v10, v3
	v_fma_f32 v4, v5, 2.0, -v0
	v_fma_f32 v5, v7, 2.0, -v1
	;; [unrolled: 1-line block ×4, first 2 shown]
	ds_write2_b64 v25, v[2:3], v[0:1] offset0:50 offset1:75
	ds_write2_b64 v25, v[6:7], v[4:5] offset1:25
	s_waitcnt lgkmcnt(0)
	s_barrier
	s_and_saveexec_b64 s[2:3], s[0:1]
	s_cbranch_execz .LBB0_27
; %bb.26:
	v_mad_u64_u32 v[4:5], s[0:1], s10, v23, 0
	v_mad_u64_u32 v[6:7], s[0:1], s8, v20, 0
	v_mov_b32_e32 v0, v5
	v_mad_u64_u32 v[0:1], s[0:1], s11, v23, v[0:1]
	v_mov_b32_e32 v1, v7
	;; [unrolled: 2-line block ×3, first 2 shown]
	v_add_co_u32_e32 v12, vcc, s12, v8
	v_mov_b32_e32 v5, v0
	v_addc_co_u32_e32 v11, vcc, v11, v9, vcc
	v_mad_u64_u32 v[8:9], s[0:1], s8, v22, 0
	v_lshlrev_b64 v[4:5], 3, v[4:5]
	v_mov_b32_e32 v7, v1
	v_mul_u32_u24_e32 v0, 0x320, v23
	v_add_co_u32_e32 v12, vcc, v12, v4
	v_add3_u32 v10, 0, v0, v24
	v_addc_co_u32_e32 v11, vcc, v11, v5, vcc
	v_lshlrev_b64 v[4:5], 3, v[6:7]
	v_mov_b32_e32 v6, v9
	ds_read2_b64 v[0:3], v10 offset1:25
	v_mad_u64_u32 v[6:7], s[0:1], s9, v22, v[6:7]
	v_add_co_u32_e32 v4, vcc, v12, v4
	v_addc_co_u32_e32 v5, vcc, v11, v5, vcc
	v_mov_b32_e32 v9, v6
	s_waitcnt lgkmcnt(0)
	global_store_dwordx2 v[4:5], v[0:1], off
	v_lshlrev_b64 v[0:1], 3, v[8:9]
	v_mad_u64_u32 v[4:5], s[0:1], s8, v21, 0
	v_add_co_u32_e32 v0, vcc, v12, v0
	v_addc_co_u32_e32 v1, vcc, v11, v1, vcc
	global_store_dwordx2 v[0:1], v[2:3], off
	v_mov_b32_e32 v0, v5
	v_mad_u64_u32 v[0:1], s[0:1], s9, v21, v[0:1]
	v_add_u32_e32 v8, 0x4b, v20
	v_mad_u64_u32 v[6:7], s[0:1], s8, v8, 0
	v_mov_b32_e32 v5, v0
	ds_read2_b64 v[0:3], v10 offset0:50 offset1:75
	v_lshlrev_b64 v[4:5], 3, v[4:5]
	v_mad_u64_u32 v[7:8], s[0:1], s9, v8, v[7:8]
	v_add_co_u32_e32 v4, vcc, v12, v4
	v_addc_co_u32_e32 v5, vcc, v11, v5, vcc
	s_waitcnt lgkmcnt(0)
	global_store_dwordx2 v[4:5], v[0:1], off
	v_lshlrev_b64 v[0:1], 3, v[6:7]
	v_add_co_u32_e32 v0, vcc, v12, v0
	v_addc_co_u32_e32 v1, vcc, v11, v1, vcc
	global_store_dwordx2 v[0:1], v[2:3], off
.LBB0_27:
	s_endpgm
	.section	.rodata,"a",@progbits
	.p2align	6, 0x0
	.amdhsa_kernel fft_rtc_fwd_len100_factors_5_5_4_wgs_200_tpt_25_halfLds_sp_ip_CI_sbcc
		.amdhsa_group_segment_fixed_size 0
		.amdhsa_private_segment_fixed_size 0
		.amdhsa_kernarg_size 96
		.amdhsa_user_sgpr_count 6
		.amdhsa_user_sgpr_private_segment_buffer 1
		.amdhsa_user_sgpr_dispatch_ptr 0
		.amdhsa_user_sgpr_queue_ptr 0
		.amdhsa_user_sgpr_kernarg_segment_ptr 1
		.amdhsa_user_sgpr_dispatch_id 0
		.amdhsa_user_sgpr_flat_scratch_init 0
		.amdhsa_user_sgpr_private_segment_size 0
		.amdhsa_uses_dynamic_stack 0
		.amdhsa_system_sgpr_private_segment_wavefront_offset 0
		.amdhsa_system_sgpr_workgroup_id_x 1
		.amdhsa_system_sgpr_workgroup_id_y 0
		.amdhsa_system_sgpr_workgroup_id_z 0
		.amdhsa_system_sgpr_workgroup_info 0
		.amdhsa_system_vgpr_workitem_id 0
		.amdhsa_next_free_vgpr 39
		.amdhsa_next_free_sgpr 41
		.amdhsa_reserve_vcc 1
		.amdhsa_reserve_flat_scratch 0
		.amdhsa_float_round_mode_32 0
		.amdhsa_float_round_mode_16_64 0
		.amdhsa_float_denorm_mode_32 3
		.amdhsa_float_denorm_mode_16_64 3
		.amdhsa_dx10_clamp 1
		.amdhsa_ieee_mode 1
		.amdhsa_fp16_overflow 0
		.amdhsa_exception_fp_ieee_invalid_op 0
		.amdhsa_exception_fp_denorm_src 0
		.amdhsa_exception_fp_ieee_div_zero 0
		.amdhsa_exception_fp_ieee_overflow 0
		.amdhsa_exception_fp_ieee_underflow 0
		.amdhsa_exception_fp_ieee_inexact 0
		.amdhsa_exception_int_div_zero 0
	.end_amdhsa_kernel
	.text
.Lfunc_end0:
	.size	fft_rtc_fwd_len100_factors_5_5_4_wgs_200_tpt_25_halfLds_sp_ip_CI_sbcc, .Lfunc_end0-fft_rtc_fwd_len100_factors_5_5_4_wgs_200_tpt_25_halfLds_sp_ip_CI_sbcc
                                        ; -- End function
	.section	.AMDGPU.csdata,"",@progbits
; Kernel info:
; codeLenInByte = 3516
; NumSgprs: 45
; NumVgprs: 39
; ScratchSize: 0
; MemoryBound: 0
; FloatMode: 240
; IeeeMode: 1
; LDSByteSize: 0 bytes/workgroup (compile time only)
; SGPRBlocks: 5
; VGPRBlocks: 9
; NumSGPRsForWavesPerEU: 45
; NumVGPRsForWavesPerEU: 39
; Occupancy: 6
; WaveLimiterHint : 1
; COMPUTE_PGM_RSRC2:SCRATCH_EN: 0
; COMPUTE_PGM_RSRC2:USER_SGPR: 6
; COMPUTE_PGM_RSRC2:TRAP_HANDLER: 0
; COMPUTE_PGM_RSRC2:TGID_X_EN: 1
; COMPUTE_PGM_RSRC2:TGID_Y_EN: 0
; COMPUTE_PGM_RSRC2:TGID_Z_EN: 0
; COMPUTE_PGM_RSRC2:TIDIG_COMP_CNT: 0
	.type	__hip_cuid_7969e27287c554d1,@object ; @__hip_cuid_7969e27287c554d1
	.section	.bss,"aw",@nobits
	.globl	__hip_cuid_7969e27287c554d1
__hip_cuid_7969e27287c554d1:
	.byte	0                               ; 0x0
	.size	__hip_cuid_7969e27287c554d1, 1

	.ident	"AMD clang version 19.0.0git (https://github.com/RadeonOpenCompute/llvm-project roc-6.4.0 25133 c7fe45cf4b819c5991fe208aaa96edf142730f1d)"
	.section	".note.GNU-stack","",@progbits
	.addrsig
	.addrsig_sym __hip_cuid_7969e27287c554d1
	.amdgpu_metadata
---
amdhsa.kernels:
  - .args:
      - .actual_access:  read_only
        .address_space:  global
        .offset:         0
        .size:           8
        .value_kind:     global_buffer
      - .address_space:  global
        .offset:         8
        .size:           8
        .value_kind:     global_buffer
      - .offset:         16
        .size:           8
        .value_kind:     by_value
      - .actual_access:  read_only
        .address_space:  global
        .offset:         24
        .size:           8
        .value_kind:     global_buffer
      - .actual_access:  read_only
        .address_space:  global
        .offset:         32
        .size:           8
        .value_kind:     global_buffer
      - .offset:         40
        .size:           8
        .value_kind:     by_value
      - .actual_access:  read_only
        .address_space:  global
        .offset:         48
        .size:           8
        .value_kind:     global_buffer
      - .actual_access:  read_only
        .address_space:  global
        .offset:         56
        .size:           8
        .value_kind:     global_buffer
      - .offset:         64
        .size:           4
        .value_kind:     by_value
      - .actual_access:  read_only
        .address_space:  global
        .offset:         72
        .size:           8
        .value_kind:     global_buffer
      - .actual_access:  read_only
        .address_space:  global
        .offset:         80
        .size:           8
        .value_kind:     global_buffer
      - .address_space:  global
        .offset:         88
        .size:           8
        .value_kind:     global_buffer
    .group_segment_fixed_size: 0
    .kernarg_segment_align: 8
    .kernarg_segment_size: 96
    .language:       OpenCL C
    .language_version:
      - 2
      - 0
    .max_flat_workgroup_size: 200
    .name:           fft_rtc_fwd_len100_factors_5_5_4_wgs_200_tpt_25_halfLds_sp_ip_CI_sbcc
    .private_segment_fixed_size: 0
    .sgpr_count:     45
    .sgpr_spill_count: 0
    .symbol:         fft_rtc_fwd_len100_factors_5_5_4_wgs_200_tpt_25_halfLds_sp_ip_CI_sbcc.kd
    .uniform_work_group_size: 1
    .uses_dynamic_stack: false
    .vgpr_count:     39
    .vgpr_spill_count: 0
    .wavefront_size: 64
amdhsa.target:   amdgcn-amd-amdhsa--gfx906
amdhsa.version:
  - 1
  - 2
...

	.end_amdgpu_metadata
